;; amdgpu-corpus repo=ROCm/rocFFT kind=compiled arch=gfx906 opt=O3
	.text
	.amdgcn_target "amdgcn-amd-amdhsa--gfx906"
	.amdhsa_code_object_version 6
	.protected	fft_rtc_fwd_len1764_factors_2_2_3_3_7_7_wgs_126_tpt_126_halfLds_sp_ip_CI_unitstride_sbrr_dirReg ; -- Begin function fft_rtc_fwd_len1764_factors_2_2_3_3_7_7_wgs_126_tpt_126_halfLds_sp_ip_CI_unitstride_sbrr_dirReg
	.globl	fft_rtc_fwd_len1764_factors_2_2_3_3_7_7_wgs_126_tpt_126_halfLds_sp_ip_CI_unitstride_sbrr_dirReg
	.p2align	8
	.type	fft_rtc_fwd_len1764_factors_2_2_3_3_7_7_wgs_126_tpt_126_halfLds_sp_ip_CI_unitstride_sbrr_dirReg,@function
fft_rtc_fwd_len1764_factors_2_2_3_3_7_7_wgs_126_tpt_126_halfLds_sp_ip_CI_unitstride_sbrr_dirReg: ; @fft_rtc_fwd_len1764_factors_2_2_3_3_7_7_wgs_126_tpt_126_halfLds_sp_ip_CI_unitstride_sbrr_dirReg
; %bb.0:
	s_load_dwordx2 s[2:3], s[4:5], 0x50
	s_load_dwordx4 s[8:11], s[4:5], 0x0
	s_load_dwordx2 s[12:13], s[4:5], 0x18
	v_mul_u32_u24_e32 v1, 0x209, v0
	v_add_u32_sdwa v5, s6, v1 dst_sel:DWORD dst_unused:UNUSED_PAD src0_sel:DWORD src1_sel:WORD_1
	v_mov_b32_e32 v3, 0
	s_waitcnt lgkmcnt(0)
	v_cmp_lt_u64_e64 s[0:1], s[10:11], 2
	v_mov_b32_e32 v1, 0
	v_mov_b32_e32 v6, v3
	s_and_b64 vcc, exec, s[0:1]
	v_mov_b32_e32 v2, 0
	s_cbranch_vccnz .LBB0_8
; %bb.1:
	s_load_dwordx2 s[0:1], s[4:5], 0x10
	s_add_u32 s6, s12, 8
	s_addc_u32 s7, s13, 0
	v_mov_b32_e32 v1, 0
	v_mov_b32_e32 v2, 0
	s_waitcnt lgkmcnt(0)
	s_add_u32 s14, s0, 8
	s_addc_u32 s15, s1, 0
	s_mov_b64 s[16:17], 1
.LBB0_2:                                ; =>This Inner Loop Header: Depth=1
	s_load_dwordx2 s[18:19], s[14:15], 0x0
                                        ; implicit-def: $vgpr7_vgpr8
	s_waitcnt lgkmcnt(0)
	v_or_b32_e32 v4, s19, v6
	v_cmp_ne_u64_e32 vcc, 0, v[3:4]
	s_and_saveexec_b64 s[0:1], vcc
	s_xor_b64 s[20:21], exec, s[0:1]
	s_cbranch_execz .LBB0_4
; %bb.3:                                ;   in Loop: Header=BB0_2 Depth=1
	v_cvt_f32_u32_e32 v4, s18
	v_cvt_f32_u32_e32 v7, s19
	s_sub_u32 s0, 0, s18
	s_subb_u32 s1, 0, s19
	v_mac_f32_e32 v4, 0x4f800000, v7
	v_rcp_f32_e32 v4, v4
	v_mul_f32_e32 v4, 0x5f7ffffc, v4
	v_mul_f32_e32 v7, 0x2f800000, v4
	v_trunc_f32_e32 v7, v7
	v_mac_f32_e32 v4, 0xcf800000, v7
	v_cvt_u32_f32_e32 v7, v7
	v_cvt_u32_f32_e32 v4, v4
	v_mul_lo_u32 v8, s0, v7
	v_mul_hi_u32 v9, s0, v4
	v_mul_lo_u32 v11, s1, v4
	v_mul_lo_u32 v10, s0, v4
	v_add_u32_e32 v8, v9, v8
	v_add_u32_e32 v8, v8, v11
	v_mul_hi_u32 v9, v4, v10
	v_mul_lo_u32 v11, v4, v8
	v_mul_hi_u32 v13, v4, v8
	v_mul_hi_u32 v12, v7, v10
	v_mul_lo_u32 v10, v7, v10
	v_mul_hi_u32 v14, v7, v8
	v_add_co_u32_e32 v9, vcc, v9, v11
	v_addc_co_u32_e32 v11, vcc, 0, v13, vcc
	v_mul_lo_u32 v8, v7, v8
	v_add_co_u32_e32 v9, vcc, v9, v10
	v_addc_co_u32_e32 v9, vcc, v11, v12, vcc
	v_addc_co_u32_e32 v10, vcc, 0, v14, vcc
	v_add_co_u32_e32 v8, vcc, v9, v8
	v_addc_co_u32_e32 v9, vcc, 0, v10, vcc
	v_add_co_u32_e32 v4, vcc, v4, v8
	v_addc_co_u32_e32 v7, vcc, v7, v9, vcc
	v_mul_lo_u32 v8, s0, v7
	v_mul_hi_u32 v9, s0, v4
	v_mul_lo_u32 v10, s1, v4
	v_mul_lo_u32 v11, s0, v4
	v_add_u32_e32 v8, v9, v8
	v_add_u32_e32 v8, v8, v10
	v_mul_lo_u32 v12, v4, v8
	v_mul_hi_u32 v13, v4, v11
	v_mul_hi_u32 v14, v4, v8
	;; [unrolled: 1-line block ×3, first 2 shown]
	v_mul_lo_u32 v11, v7, v11
	v_mul_hi_u32 v9, v7, v8
	v_add_co_u32_e32 v12, vcc, v13, v12
	v_addc_co_u32_e32 v13, vcc, 0, v14, vcc
	v_mul_lo_u32 v8, v7, v8
	v_add_co_u32_e32 v11, vcc, v12, v11
	v_addc_co_u32_e32 v10, vcc, v13, v10, vcc
	v_addc_co_u32_e32 v9, vcc, 0, v9, vcc
	v_add_co_u32_e32 v8, vcc, v10, v8
	v_addc_co_u32_e32 v9, vcc, 0, v9, vcc
	v_add_co_u32_e32 v4, vcc, v4, v8
	v_addc_co_u32_e32 v9, vcc, v7, v9, vcc
	v_mad_u64_u32 v[7:8], s[0:1], v5, v9, 0
	v_mul_hi_u32 v10, v5, v4
	v_add_co_u32_e32 v11, vcc, v10, v7
	v_addc_co_u32_e32 v12, vcc, 0, v8, vcc
	v_mad_u64_u32 v[7:8], s[0:1], v6, v4, 0
	v_mad_u64_u32 v[9:10], s[0:1], v6, v9, 0
	v_add_co_u32_e32 v4, vcc, v11, v7
	v_addc_co_u32_e32 v4, vcc, v12, v8, vcc
	v_addc_co_u32_e32 v7, vcc, 0, v10, vcc
	v_add_co_u32_e32 v4, vcc, v4, v9
	v_addc_co_u32_e32 v9, vcc, 0, v7, vcc
	v_mul_lo_u32 v10, s19, v4
	v_mul_lo_u32 v11, s18, v9
	v_mad_u64_u32 v[7:8], s[0:1], s18, v4, 0
	v_add3_u32 v8, v8, v11, v10
	v_sub_u32_e32 v10, v6, v8
	v_mov_b32_e32 v11, s19
	v_sub_co_u32_e32 v7, vcc, v5, v7
	v_subb_co_u32_e64 v10, s[0:1], v10, v11, vcc
	v_subrev_co_u32_e64 v11, s[0:1], s18, v7
	v_subbrev_co_u32_e64 v10, s[0:1], 0, v10, s[0:1]
	v_cmp_le_u32_e64 s[0:1], s19, v10
	v_cndmask_b32_e64 v12, 0, -1, s[0:1]
	v_cmp_le_u32_e64 s[0:1], s18, v11
	v_cndmask_b32_e64 v11, 0, -1, s[0:1]
	v_cmp_eq_u32_e64 s[0:1], s19, v10
	v_cndmask_b32_e64 v10, v12, v11, s[0:1]
	v_add_co_u32_e64 v11, s[0:1], 2, v4
	v_addc_co_u32_e64 v12, s[0:1], 0, v9, s[0:1]
	v_add_co_u32_e64 v13, s[0:1], 1, v4
	v_addc_co_u32_e64 v14, s[0:1], 0, v9, s[0:1]
	v_subb_co_u32_e32 v8, vcc, v6, v8, vcc
	v_cmp_ne_u32_e64 s[0:1], 0, v10
	v_cmp_le_u32_e32 vcc, s19, v8
	v_cndmask_b32_e64 v10, v14, v12, s[0:1]
	v_cndmask_b32_e64 v12, 0, -1, vcc
	v_cmp_le_u32_e32 vcc, s18, v7
	v_cndmask_b32_e64 v7, 0, -1, vcc
	v_cmp_eq_u32_e32 vcc, s19, v8
	v_cndmask_b32_e32 v7, v12, v7, vcc
	v_cmp_ne_u32_e32 vcc, 0, v7
	v_cndmask_b32_e64 v7, v13, v11, s[0:1]
	v_cndmask_b32_e32 v8, v9, v10, vcc
	v_cndmask_b32_e32 v7, v4, v7, vcc
.LBB0_4:                                ;   in Loop: Header=BB0_2 Depth=1
	s_andn2_saveexec_b64 s[0:1], s[20:21]
	s_cbranch_execz .LBB0_6
; %bb.5:                                ;   in Loop: Header=BB0_2 Depth=1
	v_cvt_f32_u32_e32 v4, s18
	s_sub_i32 s20, 0, s18
	v_rcp_iflag_f32_e32 v4, v4
	v_mul_f32_e32 v4, 0x4f7ffffe, v4
	v_cvt_u32_f32_e32 v4, v4
	v_mul_lo_u32 v7, s20, v4
	v_mul_hi_u32 v7, v4, v7
	v_add_u32_e32 v4, v4, v7
	v_mul_hi_u32 v4, v5, v4
	v_mul_lo_u32 v7, v4, s18
	v_add_u32_e32 v8, 1, v4
	v_sub_u32_e32 v7, v5, v7
	v_subrev_u32_e32 v9, s18, v7
	v_cmp_le_u32_e32 vcc, s18, v7
	v_cndmask_b32_e32 v7, v7, v9, vcc
	v_cndmask_b32_e32 v4, v4, v8, vcc
	v_add_u32_e32 v8, 1, v4
	v_cmp_le_u32_e32 vcc, s18, v7
	v_cndmask_b32_e32 v7, v4, v8, vcc
	v_mov_b32_e32 v8, v3
.LBB0_6:                                ;   in Loop: Header=BB0_2 Depth=1
	s_or_b64 exec, exec, s[0:1]
	v_mul_lo_u32 v4, v8, s18
	v_mul_lo_u32 v11, v7, s19
	v_mad_u64_u32 v[9:10], s[0:1], v7, s18, 0
	s_load_dwordx2 s[0:1], s[6:7], 0x0
	s_add_u32 s16, s16, 1
	v_add3_u32 v4, v10, v11, v4
	v_sub_co_u32_e32 v5, vcc, v5, v9
	v_subb_co_u32_e32 v4, vcc, v6, v4, vcc
	s_waitcnt lgkmcnt(0)
	v_mul_lo_u32 v4, s0, v4
	v_mul_lo_u32 v6, s1, v5
	v_mad_u64_u32 v[1:2], s[0:1], s0, v5, v[1:2]
	s_addc_u32 s17, s17, 0
	s_add_u32 s6, s6, 8
	v_add3_u32 v2, v6, v2, v4
	v_mov_b32_e32 v4, s10
	v_mov_b32_e32 v5, s11
	s_addc_u32 s7, s7, 0
	v_cmp_ge_u64_e32 vcc, s[16:17], v[4:5]
	s_add_u32 s14, s14, 8
	s_addc_u32 s15, s15, 0
	s_cbranch_vccnz .LBB0_9
; %bb.7:                                ;   in Loop: Header=BB0_2 Depth=1
	v_mov_b32_e32 v5, v7
	v_mov_b32_e32 v6, v8
	s_branch .LBB0_2
.LBB0_8:
	v_mov_b32_e32 v8, v6
	v_mov_b32_e32 v7, v5
.LBB0_9:
	s_lshl_b64 s[0:1], s[10:11], 3
	s_add_u32 s0, s12, s0
	s_addc_u32 s1, s13, s1
	s_load_dwordx2 s[6:7], s[0:1], 0x0
	s_load_dwordx2 s[10:11], s[4:5], 0x20
	v_mov_b32_e32 v13, 0
	v_mov_b32_e32 v14, 0
	;; [unrolled: 1-line block ×3, first 2 shown]
	s_waitcnt lgkmcnt(0)
	v_mad_u64_u32 v[1:2], s[0:1], s6, v7, v[1:2]
	s_mov_b32 s0, 0x2082083
	v_mul_lo_u32 v3, s6, v8
	v_mul_lo_u32 v4, s7, v7
	v_mul_hi_u32 v5, v0, s0
	v_cmp_gt_u64_e64 s[0:1], s[10:11], v[7:8]
	v_mov_b32_e32 v6, v13
	v_add3_u32 v2, v4, v2, v3
	v_mul_u32_u24_e32 v3, 0x7e, v5
	v_sub_u32_e32 v0, v0, v3
	v_lshlrev_b64 v[2:3], 3, v[1:2]
	v_mov_b32_e32 v4, v13
	v_mov_b32_e32 v9, v13
	;; [unrolled: 1-line block ×10, first 2 shown]
                                        ; implicit-def: $vgpr34
                                        ; implicit-def: $vgpr27
                                        ; implicit-def: $vgpr24
                                        ; implicit-def: $vgpr16
                                        ; implicit-def: $vgpr18
                                        ; implicit-def: $vgpr30
                                        ; implicit-def: $vgpr32
	s_and_saveexec_b64 s[4:5], s[0:1]
	s_cbranch_execz .LBB0_11
; %bb.10:
	v_mov_b32_e32 v1, 0
	v_mov_b32_e32 v4, s3
	v_add_co_u32_e32 v6, vcc, s2, v2
	v_addc_co_u32_e32 v7, vcc, v4, v3, vcc
	v_lshlrev_b64 v[4:5], 3, v[0:1]
	v_add_co_u32_e32 v15, vcc, v6, v4
	v_addc_co_u32_e32 v16, vcc, v7, v5, vcc
	v_add_co_u32_e32 v35, vcc, 0x1000, v15
	v_addc_co_u32_e32 v36, vcc, 0, v16, vcc
	;; [unrolled: 2-line block ×3, first 2 shown]
	global_load_dwordx2 v[13:14], v[15:16], off
	global_load_dwordx2 v[19:20], v[15:16], off offset:1008
	global_load_dwordx2 v[4:5], v[15:16], off offset:2016
	;; [unrolled: 1-line block ×7, first 2 shown]
	v_add_co_u32_e32 v39, vcc, 0x3000, v15
	v_addc_co_u32_e32 v40, vcc, 0, v16, vcc
	global_load_dwordx2 v[31:32], v[35:36], off offset:3968
	global_load_dwordx2 v[29:30], v[37:38], off offset:880
	;; [unrolled: 1-line block ×6, first 2 shown]
.LBB0_11:
	s_or_b64 exec, exec, s[4:5]
	s_waitcnt vmcnt(7)
	v_sub_f32_e32 v37, v14, v34
	v_sub_f32_e32 v35, v13, v33
	v_fma_f32 v36, v14, 2.0, -v37
	s_waitcnt vmcnt(5)
	v_sub_f32_e32 v14, v19, v31
	v_add_u32_e32 v40, 0x7e, v0
	v_fma_f32 v34, v13, 2.0, -v35
	v_fma_f32 v13, v19, 2.0, -v14
	v_lshl_add_u32 v19, v40, 3, 0
	ds_write_b64 v19, v[13:14]
	s_waitcnt vmcnt(4)
	v_sub_f32_e32 v14, v4, v29
	v_add_u32_e32 v43, 0xfc, v0
	v_fma_f32 v13, v4, 2.0, -v14
	v_lshl_add_u32 v4, v43, 3, 0
	ds_write_b64 v4, v[13:14]
	s_waitcnt vmcnt(3)
	v_sub_f32_e32 v14, v6, v26
	v_add_u32_e32 v42, 0x17a, v0
	;; [unrolled: 6-line block ×4, first 2 shown]
	v_fma_f32 v8, v11, 2.0, -v9
	v_lshl_add_u32 v11, v13, 3, 0
	v_lshl_add_u32 v33, v0, 3, 0
	ds_write_b64 v11, v[8:9]
	s_waitcnt vmcnt(0)
	v_sub_f32_e32 v9, v21, v17
	v_add_u32_e32 v17, 0x2f4, v0
	v_lshlrev_b32_e32 v1, 2, v0
	v_sub_f32_e32 v6, v5, v30
	ds_write_b64 v33, v[34:35]
	v_fma_f32 v8, v21, 2.0, -v9
	v_lshl_add_u32 v34, v17, 3, 0
	v_sub_u32_e32 v1, v33, v1
	v_fma_f32 v5, v5, 2.0, -v6
	ds_write_b64 v34, v[8:9]
	s_waitcnt lgkmcnt(0)
	s_barrier
	v_add_u32_e32 v35, 0xa00, v1
	v_add_u32_e32 v38, 0xe00, v1
	;; [unrolled: 1-line block ×6, first 2 shown]
	ds_read2_b32 v[49:50], v1 offset1:126
	ds_read2_b32 v[28:29], v35 offset0:116 offset1:242
	ds_read2_b32 v[25:26], v38 offset0:112 offset1:238
	ds_read2_b32 v[52:53], v45 offset0:124 offset1:250
	ds_read2_b32 v[14:15], v46 offset0:108 offset1:234
	ds_read2_b32 v[54:55], v44 offset0:120 offset1:246
	ds_read2_b32 v[8:9], v48 offset0:104 offset1:230
	s_waitcnt lgkmcnt(0)
	s_barrier
	ds_write_b64 v4, v[5:6]
	v_sub_f32_e32 v5, v7, v27
	v_fma_f32 v4, v7, 2.0, -v5
	ds_write_b64 v31, v[4:5]
	v_sub_f32_e32 v5, v10, v24
	v_fma_f32 v4, v10, 2.0, -v5
	;; [unrolled: 3-line block ×4, first 2 shown]
	v_sub_f32_e32 v21, v20, v32
	ds_write_b64 v34, v[4:5]
	v_and_b32_e32 v4, 1, v0
	v_fma_f32 v20, v20, 2.0, -v21
	v_lshlrev_b32_e32 v5, 3, v4
	ds_write_b64 v33, v[36:37]
	ds_write_b64 v19, v[20:21]
	s_waitcnt lgkmcnt(0)
	s_barrier
	global_load_dwordx2 v[18:19], v5, s[8:9]
	ds_read2_b32 v[10:11], v35 offset0:116 offset1:242
	s_movk_i32 s4, 0xfc
	v_lshlrev_b32_e32 v6, 1, v0
	v_and_or_b32 v6, v6, s4, v4
	v_lshl_add_u32 v24, v6, 2, 0
	ds_read2_b32 v[38:39], v38 offset0:112 offset1:238
	ds_read2_b32 v[22:23], v44 offset0:120 offset1:246
	ds_read2_b32 v[32:33], v1 offset1:126
	ds_read2_b32 v[30:31], v45 offset0:124 offset1:250
	ds_read2_b32 v[36:37], v46 offset0:108 offset1:234
	;; [unrolled: 1-line block ×3, first 2 shown]
	s_waitcnt vmcnt(0) lgkmcnt(0)
	s_barrier
	s_movk_i32 s4, 0x1fc
	v_lshlrev_b32_e32 v7, 1, v40
	v_and_or_b32 v7, v7, s4, v4
	s_movk_i32 s4, 0x3fc
	s_movk_i32 s5, 0x5fc
	v_add_u32_e32 v57, 0x800, v1
	v_add_u32_e32 v56, 0xc00, v1
	v_mul_f32_e32 v5, v11, v19
	v_fma_f32 v5, v29, v18, -v5
	v_sub_f32_e32 v5, v49, v5
	v_fma_f32 v6, v49, 2.0, -v5
	ds_write2_b32 v24, v6, v5 offset1:2
	v_mul_f32_e32 v5, v38, v19
	v_fma_f32 v5, v25, v18, -v5
	v_sub_f32_e32 v5, v50, v5
	v_fma_f32 v6, v50, 2.0, -v5
	v_lshl_add_u32 v50, v7, 2, 0
	ds_write2_b32 v50, v6, v5 offset1:2
	v_mul_f32_e32 v5, v39, v19
	v_fma_f32 v5, v26, v18, -v5
	v_lshlrev_b32_e32 v6, 1, v43
	v_sub_f32_e32 v5, v52, v5
	v_and_or_b32 v6, v6, s4, v4
	v_lshl_add_u32 v51, v6, 2, 0
	v_fma_f32 v6, v52, 2.0, -v5
	ds_write2_b32 v51, v6, v5 offset1:2
	v_mul_f32_e32 v5, v36, v19
	v_fma_f32 v5, v14, v18, -v5
	v_lshlrev_b32_e32 v7, 1, v42
	v_sub_f32_e32 v5, v53, v5
	v_and_or_b32 v7, v7, s4, v4
	v_fma_f32 v6, v53, 2.0, -v5
	v_lshl_add_u32 v52, v7, 2, 0
	ds_write2_b32 v52, v6, v5 offset1:2
	v_mul_f32_e32 v5, v37, v19
	v_fma_f32 v5, v15, v18, -v5
	s_movk_i32 s4, 0x7fc
	v_lshlrev_b32_e32 v6, 1, v41
	v_sub_f32_e32 v5, v54, v5
	v_and_or_b32 v6, v6, s4, v4
	v_lshl_add_u32 v53, v6, 2, 0
	v_fma_f32 v6, v54, 2.0, -v5
	ds_write2_b32 v53, v6, v5 offset1:2
	v_mul_f32_e32 v5, v34, v19
	v_fma_f32 v5, v8, v18, -v5
	v_lshlrev_b32_e32 v7, 1, v13
	v_sub_f32_e32 v5, v55, v5
	v_and_or_b32 v7, v7, s5, v4
	v_fma_f32 v6, v55, 2.0, -v5
	v_lshl_add_u32 v54, v7, 2, 0
	ds_write2_b32 v54, v6, v5 offset1:2
	v_lshlrev_b32_e32 v5, 1, v17
	v_and_or_b32 v4, v5, s4, v4
	v_mul_f32_e32 v5, v35, v19
	v_fma_f32 v5, v9, v18, -v5
	v_sub_f32_e32 v47, v28, v5
	v_lshl_add_u32 v55, v4, 2, 0
	v_fma_f32 v44, v28, 2.0, -v47
	ds_write2_b32 v55, v44, v47 offset1:2
	s_waitcnt lgkmcnt(0)
	s_barrier
	ds_read2_b32 v[6:7], v1 offset1:126
	ds_read2_b32 v[27:28], v57 offset0:76 offset1:202
	ds_read2_b32 v[20:21], v46 offset0:24 offset1:150
	;; [unrolled: 1-line block ×5, first 2 shown]
	s_movk_i32 s4, 0x54
	v_cmp_gt_u32_e32 vcc, s4, v0
                                        ; implicit-def: $vgpr49
	s_and_saveexec_b64 s[4:5], vcc
	s_cbranch_execz .LBB0_13
; %bb.12:
	ds_read_b32 v44, v1 offset:2016
	ds_read_b32 v47, v1 offset:4368
	;; [unrolled: 1-line block ×3, first 2 shown]
.LBB0_13:
	s_or_b64 exec, exec, s[4:5]
	v_mul_f32_e32 v29, v29, v19
	v_mul_f32_e32 v15, v15, v19
	;; [unrolled: 1-line block ×3, first 2 shown]
	v_fmac_f32_e32 v29, v11, v18
	v_mul_f32_e32 v11, v25, v19
	v_mul_f32_e32 v25, v26, v19
	;; [unrolled: 1-line block ×3, first 2 shown]
	v_fmac_f32_e32 v15, v37, v18
	v_fmac_f32_e32 v8, v34, v18
	v_mul_f32_e32 v9, v9, v19
	v_fmac_f32_e32 v11, v38, v18
	v_fmac_f32_e32 v25, v39, v18
	;; [unrolled: 1-line block ×4, first 2 shown]
	v_sub_f32_e32 v18, v32, v29
	v_sub_f32_e32 v15, v22, v15
	;; [unrolled: 1-line block ×3, first 2 shown]
	v_fma_f32 v19, v32, 2.0, -v18
	v_sub_f32_e32 v11, v33, v11
	v_sub_f32_e32 v25, v30, v25
	;; [unrolled: 1-line block ×3, first 2 shown]
	v_fma_f32 v22, v22, 2.0, -v15
	v_fma_f32 v23, v23, 2.0, -v8
	v_sub_f32_e32 v32, v10, v9
	v_fma_f32 v26, v33, 2.0, -v11
	v_fma_f32 v30, v30, 2.0, -v25
	;; [unrolled: 1-line block ×4, first 2 shown]
	s_waitcnt lgkmcnt(0)
	s_barrier
	ds_write2_b32 v24, v19, v18 offset1:2
	ds_write2_b32 v50, v26, v11 offset1:2
	;; [unrolled: 1-line block ×7, first 2 shown]
	s_waitcnt lgkmcnt(0)
	s_barrier
	ds_read2_b32 v[10:11], v1 offset1:126
	ds_read2_b32 v[24:25], v57 offset0:76 offset1:202
	ds_read2_b32 v[22:23], v46 offset0:24 offset1:150
	;; [unrolled: 1-line block ×5, first 2 shown]
                                        ; implicit-def: $vgpr30
	s_and_saveexec_b64 s[4:5], vcc
	s_cbranch_execz .LBB0_15
; %bb.14:
	ds_read_b32 v29, v1 offset:2016
	ds_read_b32 v32, v1 offset:4368
	;; [unrolled: 1-line block ×3, first 2 shown]
.LBB0_15:
	s_or_b64 exec, exec, s[4:5]
	v_and_b32_e32 v26, 3, v0
	v_lshlrev_b32_e32 v31, 4, v26
	global_load_dwordx4 v[50:53], v31, s[8:9] offset:16
	v_and_b32_e32 v58, 3, v40
	v_and_b32_e32 v59, 3, v42
	v_lshlrev_b32_e32 v39, 4, v59
	global_load_dwordx2 v[45:46], v39, s[8:9] offset:16
	s_waitcnt vmcnt(1) lgkmcnt(4)
	v_mul_f32_e32 v31, v24, v51
	v_fma_f32 v31, v27, v50, -v31
	v_mul_f32_e32 v27, v27, v51
	v_fmac_f32_e32 v27, v24, v50
	s_waitcnt lgkmcnt(3)
	v_mul_f32_e32 v24, v22, v53
	v_fma_f32 v24, v20, v52, -v24
	v_mul_f32_e32 v20, v20, v53
	v_fmac_f32_e32 v20, v22, v52
	v_lshlrev_b32_e32 v22, 4, v58
	global_load_dword v34, v22, s[8:9] offset:16
	global_load_dwordx2 v[54:55], v39, s[8:9] offset:20
	global_load_dwordx2 v[56:57], v39, s[8:9] offset:24
	v_mul_f32_e32 v37, v12, v53
	s_waitcnt lgkmcnt(0)
	v_fmac_f32_e32 v37, v14, v52
	s_waitcnt vmcnt(3)
	v_mul_f32_e32 v33, v28, v46
	v_mul_f32_e32 v22, v25, v46
	s_waitcnt vmcnt(2)
	v_fmac_f32_e32 v33, v25, v34
	s_waitcnt vmcnt(0)
	v_mul_f32_e32 v25, v23, v57
	v_fma_f32 v36, v21, v55, -v25
	v_mul_f32_e32 v38, v21, v57
	v_mul_f32_e32 v21, v18, v51
	v_fma_f32 v22, v28, v34, -v22
	v_fmac_f32_e32 v38, v23, v55
	v_fma_f32 v23, v16, v50, -v21
	v_mul_f32_e32 v34, v16, v51
	v_mul_f32_e32 v16, v14, v53
	v_fma_f32 v35, v12, v52, -v16
	v_mul_f32_e32 v12, v19, v54
	v_fma_f32 v21, v17, v45, -v12
	global_load_dword v12, v39, s[8:9] offset:28
	v_mul_f32_e32 v25, v17, v54
	v_fmac_f32_e32 v25, v19, v45
	v_add_f32_e32 v17, v23, v35
	v_fmac_f32_e32 v34, v18, v50
	v_lshrrev_b32_e32 v28, 2, v40
	s_waitcnt vmcnt(0)
	s_barrier
	v_mul_f32_e32 v14, v15, v12
	v_mul_f32_e32 v46, v13, v12
	;; [unrolled: 1-line block ×3, first 2 shown]
	v_fma_f32 v45, v13, v56, -v14
	v_fma_f32 v39, v47, v50, -v12
	v_mul_f32_e32 v12, v30, v53
	v_add_f32_e32 v13, v31, v24
	v_fma_f32 v48, v49, v52, -v12
	v_add_f32_e32 v12, v6, v31
	v_fma_f32 v6, -0.5, v13, v6
	v_fmac_f32_e32 v46, v15, v56
	v_sub_f32_e32 v13, v27, v20
	v_mov_b32_e32 v14, v6
	v_add_f32_e32 v15, v22, v36
	v_fmac_f32_e32 v14, 0x3f5db3d7, v13
	v_fmac_f32_e32 v6, 0xbf5db3d7, v13
	v_add_f32_e32 v13, v7, v22
	v_fmac_f32_e32 v7, -0.5, v15
	v_sub_f32_e32 v15, v33, v38
	v_mov_b32_e32 v16, v7
	v_fmac_f32_e32 v16, 0x3f5db3d7, v15
	v_fmac_f32_e32 v7, 0xbf5db3d7, v15
	v_add_f32_e32 v15, v4, v23
	v_fma_f32 v4, -0.5, v17, v4
	v_sub_f32_e32 v17, v34, v37
	v_mov_b32_e32 v18, v4
	v_add_f32_e32 v19, v21, v45
	v_fmac_f32_e32 v18, 0x3f5db3d7, v17
	v_fmac_f32_e32 v4, 0xbf5db3d7, v17
	v_add_f32_e32 v17, v5, v21
	v_fmac_f32_e32 v5, -0.5, v19
	v_mul_f32_e32 v49, v49, v53
	v_sub_f32_e32 v19, v25, v46
	v_mov_b32_e32 v53, v5
	v_fmac_f32_e32 v53, 0x3f5db3d7, v19
	v_fmac_f32_e32 v5, 0xbf5db3d7, v19
	v_add_f32_e32 v19, v44, v39
	v_mul_f32_e32 v47, v47, v51
	v_fmac_f32_e32 v49, v30, v52
	v_add_f32_e32 v30, v19, v48
	v_add_f32_e32 v19, v39, v48
	v_fmac_f32_e32 v47, v32, v50
	v_fmac_f32_e32 v44, -0.5, v19
	v_sub_f32_e32 v19, v47, v49
	v_mov_b32_e32 v32, v44
	v_fmac_f32_e32 v32, 0x3f5db3d7, v19
	v_fmac_f32_e32 v44, 0xbf5db3d7, v19
	v_lshrrev_b32_e32 v19, 2, v0
	v_mul_u32_u24_e32 v19, 12, v19
	v_or_b32_e32 v19, v19, v26
	v_add_f32_e32 v12, v12, v24
	v_lshl_add_u32 v50, v19, 2, 0
	ds_write2_b32 v50, v12, v14 offset1:4
	ds_write_b32 v50, v6 offset:32
	v_mul_u32_u24_e32 v6, 12, v28
	v_or_b32_e32 v6, v6, v58
	v_lshl_add_u32 v51, v6, 2, 0
	v_lshrrev_b32_e32 v6, 2, v43
	v_mul_u32_u24_e32 v6, 12, v6
	v_or_b32_e32 v6, v6, v26
	v_add_f32_e32 v13, v13, v36
	v_add_f32_e32 v15, v15, v35
	v_lshl_add_u32 v52, v6, 2, 0
	ds_write2_b32 v51, v13, v16 offset1:4
	ds_write_b32 v51, v7 offset:32
	ds_write2_b32 v52, v15, v18 offset1:4
	ds_write_b32 v52, v4 offset:32
	v_lshrrev_b32_e32 v4, 2, v42
	v_mul_u32_u24_e32 v4, 12, v4
	v_or_b32_e32 v4, v4, v59
	v_add_f32_e32 v17, v17, v45
	v_lshl_add_u32 v54, v4, 2, 0
	ds_write2_b32 v54, v17, v53 offset1:4
	ds_write_b32 v54, v5 offset:32
	v_lshrrev_b32_e32 v53, 2, v41
	s_and_saveexec_b64 s[4:5], vcc
	s_cbranch_execz .LBB0_17
; %bb.16:
	v_mul_u32_u24_e32 v4, 12, v53
	v_or_b32_e32 v4, v4, v26
	v_lshl_add_u32 v4, v4, 2, 0
	ds_write2_b32 v4, v30, v32 offset1:4
	ds_write_b32 v4, v44 offset:32
.LBB0_17:
	s_or_b64 exec, exec, s[4:5]
	v_add_u32_e32 v4, 0x800, v1
	s_waitcnt lgkmcnt(0)
	s_barrier
	ds_read2_b32 v[18:19], v4 offset0:76 offset1:202
	v_add_u32_e32 v4, 0x1200, v1
	v_add_u32_e32 v12, 0xc00, v1
	ds_read2_b32 v[16:17], v4 offset0:24 offset1:150
	v_add_u32_e32 v4, 0x200, v1
	ds_read2_b32 v[14:15], v12 offset0:72 offset1:198
	v_add_u32_e32 v12, 0x1600, v1
	ds_read2_b32 v[6:7], v1 offset1:126
	ds_read2_b32 v[4:5], v4 offset0:124 offset1:250
	ds_read2_b32 v[12:13], v12 offset0:20 offset1:146
	s_and_saveexec_b64 s[4:5], vcc
	s_cbranch_execz .LBB0_19
; %bb.18:
	ds_read_b32 v30, v1 offset:2016
	ds_read_b32 v32, v1 offset:4368
	;; [unrolled: 1-line block ×3, first 2 shown]
.LBB0_19:
	s_or_b64 exec, exec, s[4:5]
	v_add_f32_e32 v55, v10, v27
	v_add_f32_e32 v55, v55, v20
	;; [unrolled: 1-line block ×3, first 2 shown]
	v_fma_f32 v10, -0.5, v20, v10
	v_sub_f32_e32 v20, v31, v24
	v_mov_b32_e32 v24, v10
	v_add_f32_e32 v27, v33, v38
	v_fmac_f32_e32 v24, 0xbf5db3d7, v20
	v_fmac_f32_e32 v10, 0x3f5db3d7, v20
	v_add_f32_e32 v20, v11, v33
	v_fmac_f32_e32 v11, -0.5, v27
	v_sub_f32_e32 v22, v22, v36
	v_mov_b32_e32 v27, v11
	v_add_f32_e32 v31, v34, v37
	v_fmac_f32_e32 v27, 0xbf5db3d7, v22
	v_fmac_f32_e32 v11, 0x3f5db3d7, v22
	v_add_f32_e32 v22, v8, v34
	v_fma_f32 v8, -0.5, v31, v8
	v_sub_f32_e32 v23, v23, v35
	v_mov_b32_e32 v33, v8
	v_fmac_f32_e32 v33, 0xbf5db3d7, v23
	v_fmac_f32_e32 v8, 0x3f5db3d7, v23
	v_add_f32_e32 v23, v9, v25
	v_add_f32_e32 v25, v25, v46
	v_fmac_f32_e32 v9, -0.5, v25
	v_sub_f32_e32 v21, v21, v45
	v_mov_b32_e32 v25, v9
	v_fmac_f32_e32 v25, 0xbf5db3d7, v21
	v_fmac_f32_e32 v9, 0x3f5db3d7, v21
	v_add_f32_e32 v21, v29, v47
	v_add_f32_e32 v31, v21, v49
	;; [unrolled: 1-line block ×3, first 2 shown]
	v_fmac_f32_e32 v29, -0.5, v21
	v_sub_f32_e32 v21, v39, v48
	v_mov_b32_e32 v35, v29
	v_fmac_f32_e32 v35, 0xbf5db3d7, v21
	v_fmac_f32_e32 v29, 0x3f5db3d7, v21
	v_add_f32_e32 v20, v20, v38
	v_add_f32_e32 v22, v22, v37
	;; [unrolled: 1-line block ×3, first 2 shown]
	s_waitcnt lgkmcnt(0)
	s_barrier
	ds_write2_b32 v50, v55, v24 offset1:4
	ds_write_b32 v50, v10 offset:32
	ds_write2_b32 v51, v20, v27 offset1:4
	ds_write_b32 v51, v11 offset:32
	;; [unrolled: 2-line block ×4, first 2 shown]
	s_and_saveexec_b64 s[4:5], vcc
	s_cbranch_execz .LBB0_21
; %bb.20:
	v_mul_u32_u24_e32 v8, 12, v53
	v_or_b32_e32 v8, v8, v26
	v_lshl_add_u32 v8, v8, 2, 0
	ds_write2_b32 v8, v31, v35 offset1:4
	ds_write_b32 v8, v29 offset:32
.LBB0_21:
	s_or_b64 exec, exec, s[4:5]
	v_add_u32_e32 v10, 0x800, v1
	s_waitcnt lgkmcnt(0)
	s_barrier
	ds_read2_b32 v[26:27], v10 offset0:76 offset1:202
	v_add_u32_e32 v10, 0x1200, v1
	v_add_u32_e32 v20, 0xc00, v1
	ds_read2_b32 v[24:25], v10 offset0:24 offset1:150
	v_add_u32_e32 v10, 0x200, v1
	ds_read2_b32 v[22:23], v20 offset0:72 offset1:198
	v_add_u32_e32 v20, 0x1600, v1
	ds_read2_b32 v[8:9], v1 offset1:126
	ds_read2_b32 v[10:11], v10 offset0:124 offset1:250
	ds_read2_b32 v[20:21], v20 offset0:20 offset1:146
	s_and_saveexec_b64 s[4:5], vcc
	s_cbranch_execz .LBB0_23
; %bb.22:
	ds_read_b32 v31, v1 offset:2016
	ds_read_b32 v35, v1 offset:4368
	;; [unrolled: 1-line block ×3, first 2 shown]
.LBB0_23:
	s_or_b64 exec, exec, s[4:5]
	s_movk_i32 s4, 0xab
	v_mul_lo_u16_sdwa v33, v0, s4 dst_sel:DWORD dst_unused:UNUSED_PAD src0_sel:BYTE_0 src1_sel:DWORD
	v_lshrrev_b16_e32 v45, 11, v33
	v_mul_lo_u16_e32 v33, 12, v45
	v_sub_u16_e32 v46, v0, v33
	v_mov_b32_e32 v47, 4
	v_lshlrev_b32_sdwa v33, v47, v46 dst_sel:DWORD dst_unused:UNUSED_PAD src0_sel:DWORD src1_sel:BYTE_0
	global_load_dwordx4 v[36:39], v33, s[8:9] offset:80
	s_waitcnt vmcnt(0) lgkmcnt(5)
	v_mul_f32_e32 v33, v26, v37
	v_fma_f32 v33, v18, v36, -v33
	v_mul_f32_e32 v18, v18, v37
	v_fmac_f32_e32 v18, v26, v36
	s_waitcnt lgkmcnt(4)
	v_mul_f32_e32 v26, v24, v39
	v_fma_f32 v26, v16, v38, -v26
	v_mul_f32_e32 v34, v16, v39
	v_mul_lo_u16_sdwa v16, v40, s4 dst_sel:DWORD dst_unused:UNUSED_PAD src0_sel:BYTE_0 src1_sel:DWORD
	v_lshrrev_b16_e32 v48, 11, v16
	v_mul_lo_u16_e32 v16, 12, v48
	v_sub_u16_e32 v49, v40, v16
	v_lshlrev_b32_sdwa v16, v47, v49 dst_sel:DWORD dst_unused:UNUSED_PAD src0_sel:DWORD src1_sel:BYTE_0
	v_fmac_f32_e32 v34, v24, v38
	global_load_dwordx4 v[36:39], v16, s[8:9] offset:80
	s_mov_b32 s4, 0xaaab
	s_waitcnt vmcnt(0)
	v_mul_f32_e32 v24, v25, v39
	v_fma_f32 v24, v17, v38, -v24
	v_mul_f32_e32 v17, v17, v39
	v_fmac_f32_e32 v17, v25, v38
	v_mul_u32_u24_sdwa v25, v43, s4 dst_sel:DWORD dst_unused:UNUSED_PAD src0_sel:WORD_0 src1_sel:DWORD
	v_lshrrev_b32_e32 v47, 19, v25
	v_mul_lo_u16_e32 v25, 12, v47
	v_mul_f32_e32 v16, v27, v37
	v_sub_u16_e32 v43, v43, v25
	v_fma_f32 v16, v19, v36, -v16
	v_mul_f32_e32 v19, v19, v37
	v_lshlrev_b32_e32 v25, 4, v43
	v_fmac_f32_e32 v19, v27, v36
	global_load_dwordx4 v[36:39], v25, s[8:9] offset:80
	s_waitcnt vmcnt(0) lgkmcnt(3)
	v_mul_f32_e32 v25, v22, v37
	v_fma_f32 v25, v14, v36, -v25
	v_mul_f32_e32 v14, v14, v37
	v_fmac_f32_e32 v14, v22, v36
	s_waitcnt lgkmcnt(0)
	v_mul_f32_e32 v22, v20, v39
	v_fma_f32 v22, v12, v38, -v22
	v_mul_f32_e32 v12, v12, v39
	v_fmac_f32_e32 v12, v20, v38
	v_mul_u32_u24_sdwa v20, v42, s4 dst_sel:DWORD dst_unused:UNUSED_PAD src0_sel:WORD_0 src1_sel:DWORD
	v_lshrrev_b32_e32 v50, 19, v20
	v_mul_lo_u16_e32 v20, 12, v50
	v_sub_u16_e32 v42, v42, v20
	v_lshlrev_b32_e32 v20, 4, v42
	global_load_dwordx4 v[36:39], v20, s[8:9] offset:80
	s_waitcnt vmcnt(0)
	v_mul_f32_e32 v20, v23, v37
	v_fma_f32 v20, v15, v36, -v20
	v_mul_f32_e32 v15, v15, v37
	v_fmac_f32_e32 v15, v23, v36
	v_mul_f32_e32 v23, v21, v39
	v_fma_f32 v23, v13, v38, -v23
	v_mul_f32_e32 v13, v13, v39
	v_fmac_f32_e32 v13, v21, v38
	v_mul_u32_u24_sdwa v21, v41, s4 dst_sel:DWORD dst_unused:UNUSED_PAD src0_sel:WORD_0 src1_sel:DWORD
	v_lshrrev_b32_e32 v21, 19, v21
	v_mul_lo_u16_e32 v27, 12, v21
	v_sub_u16_e32 v51, v41, v27
	v_lshlrev_b32_e32 v27, 4, v51
	global_load_dwordx4 v[36:39], v27, s[8:9] offset:80
	s_waitcnt vmcnt(0)
	s_barrier
	v_mul_f32_e32 v27, v35, v37
	v_fma_f32 v27, v32, v36, -v27
	v_mul_f32_e32 v32, v32, v37
	v_fmac_f32_e32 v32, v35, v36
	v_mul_f32_e32 v36, v44, v39
	v_add_f32_e32 v37, v33, v26
	v_mul_f32_e32 v35, v29, v39
	v_fmac_f32_e32 v36, v29, v38
	v_add_f32_e32 v29, v6, v33
	v_fma_f32 v6, -0.5, v37, v6
	v_fma_f32 v35, v44, v38, -v35
	v_sub_f32_e32 v37, v18, v34
	v_mov_b32_e32 v39, v6
	v_add_f32_e32 v38, v16, v24
	v_fmac_f32_e32 v39, 0x3f5db3d7, v37
	v_fmac_f32_e32 v6, 0xbf5db3d7, v37
	v_add_f32_e32 v37, v7, v16
	v_fmac_f32_e32 v7, -0.5, v38
	v_sub_f32_e32 v38, v19, v17
	v_mov_b32_e32 v41, v7
	v_fmac_f32_e32 v41, 0x3f5db3d7, v38
	v_fmac_f32_e32 v7, 0xbf5db3d7, v38
	v_add_f32_e32 v38, v4, v25
	v_add_f32_e32 v44, v38, v22
	;; [unrolled: 1-line block ×3, first 2 shown]
	v_fma_f32 v4, -0.5, v38, v4
	v_sub_f32_e32 v38, v14, v12
	v_mov_b32_e32 v52, v4
	v_fmac_f32_e32 v52, 0x3f5db3d7, v38
	v_fmac_f32_e32 v4, 0xbf5db3d7, v38
	v_add_f32_e32 v38, v5, v20
	v_add_f32_e32 v53, v38, v23
	;; [unrolled: 1-line block ×3, first 2 shown]
	v_fmac_f32_e32 v5, -0.5, v38
	v_sub_f32_e32 v38, v15, v13
	v_mov_b32_e32 v54, v5
	v_fmac_f32_e32 v54, 0x3f5db3d7, v38
	v_fmac_f32_e32 v5, 0xbf5db3d7, v38
	v_mul_u32_u24_e32 v38, 0x90, v45
	v_mov_b32_e32 v45, 2
	v_lshlrev_b32_sdwa v46, v45, v46 dst_sel:DWORD dst_unused:UNUSED_PAD src0_sel:DWORD src1_sel:BYTE_0
	v_add_f32_e32 v29, v29, v26
	v_add3_u32 v38, 0, v38, v46
	ds_write2_b32 v38, v29, v39 offset1:12
	ds_write_b32 v38, v6 offset:96
	v_mul_u32_u24_e32 v6, 0x90, v48
	v_lshlrev_b32_sdwa v29, v45, v49 dst_sel:DWORD dst_unused:UNUSED_PAD src0_sel:DWORD src1_sel:BYTE_0
	v_add_f32_e32 v37, v37, v24
	v_add3_u32 v39, 0, v6, v29
	ds_write2_b32 v39, v37, v41 offset1:12
	ds_write_b32 v39, v7 offset:96
	v_mul_u32_u24_e32 v6, 0x90, v47
	v_lshlrev_b32_e32 v7, 2, v43
	v_add3_u32 v41, 0, v6, v7
	ds_write2_b32 v41, v44, v52 offset1:12
	ds_write_b32 v41, v4 offset:96
	v_mul_u32_u24_e32 v4, 0x90, v50
	v_lshlrev_b32_e32 v6, 2, v42
	v_add3_u32 v42, 0, v4, v6
	v_mul_lo_u16_e32 v29, 36, v21
	v_lshlrev_b32_e32 v37, 2, v51
	ds_write2_b32 v42, v53, v54 offset1:12
	ds_write_b32 v42, v5 offset:96
	s_and_saveexec_b64 s[4:5], vcc
	s_cbranch_execz .LBB0_25
; %bb.24:
	v_add_f32_e32 v4, v27, v35
	v_fma_f32 v4, -0.5, v4, v30
	v_sub_f32_e32 v5, v32, v36
	v_mov_b32_e32 v6, v4
	v_fmac_f32_e32 v6, 0xbf5db3d7, v5
	v_fmac_f32_e32 v4, 0x3f5db3d7, v5
	v_add_f32_e32 v5, v30, v27
	v_lshlrev_b32_e32 v7, 2, v29
	v_add_f32_e32 v5, v5, v35
	v_add3_u32 v7, 0, v37, v7
	ds_write2_b32 v7, v5, v4 offset1:12
	ds_write_b32 v7, v6 offset:96
.LBB0_25:
	s_or_b64 exec, exec, s[4:5]
	v_add_f32_e32 v4, v8, v18
	v_add_f32_e32 v30, v4, v34
	v_add_f32_e32 v4, v18, v34
	v_fma_f32 v34, -0.5, v4, v8
	v_sub_f32_e32 v4, v33, v26
	v_mov_b32_e32 v33, v34
	v_fmac_f32_e32 v33, 0xbf5db3d7, v4
	v_fmac_f32_e32 v34, 0x3f5db3d7, v4
	v_add_f32_e32 v4, v9, v19
	v_add_f32_e32 v43, v4, v17
	;; [unrolled: 1-line block ×3, first 2 shown]
	v_fmac_f32_e32 v9, -0.5, v4
	v_sub_f32_e32 v4, v16, v24
	v_mov_b32_e32 v44, v9
	v_fmac_f32_e32 v44, 0xbf5db3d7, v4
	v_fmac_f32_e32 v9, 0x3f5db3d7, v4
	v_add_f32_e32 v4, v10, v14
	v_add_f32_e32 v45, v4, v12
	;; [unrolled: 1-line block ×3, first 2 shown]
	v_fma_f32 v10, -0.5, v4, v10
	v_sub_f32_e32 v4, v25, v22
	v_mov_b32_e32 v46, v10
	v_fmac_f32_e32 v46, 0xbf5db3d7, v4
	v_fmac_f32_e32 v10, 0x3f5db3d7, v4
	v_add_f32_e32 v4, v11, v15
	v_add_f32_e32 v47, v4, v13
	;; [unrolled: 1-line block ×3, first 2 shown]
	v_fmac_f32_e32 v11, -0.5, v4
	v_sub_f32_e32 v4, v20, v23
	v_mov_b32_e32 v48, v11
	v_add_u32_e32 v8, 0x200, v1
	v_add_u32_e32 v22, 0x600, v1
	v_add_u32_e32 v23, 0xa00, v1
	v_add_u32_e32 v24, 0xe00, v1
	v_add_u32_e32 v25, 0x1200, v1
	v_add_u32_e32 v26, 0x1600, v1
	v_fmac_f32_e32 v48, 0xbf5db3d7, v4
	v_fmac_f32_e32 v11, 0x3f5db3d7, v4
	s_waitcnt lgkmcnt(0)
	s_barrier
	ds_read2_b32 v[4:5], v1 offset1:126
	ds_read2_b32 v[20:21], v8 offset0:124 offset1:250
	ds_read2_b32 v[18:19], v22 offset0:120 offset1:246
	;; [unrolled: 1-line block ×6, first 2 shown]
	s_waitcnt lgkmcnt(0)
	s_barrier
	ds_write2_b32 v38, v30, v33 offset1:12
	ds_write_b32 v38, v34 offset:96
	ds_write2_b32 v39, v43, v44 offset1:12
	ds_write_b32 v39, v9 offset:96
	;; [unrolled: 2-line block ×4, first 2 shown]
	s_and_saveexec_b64 s[4:5], vcc
	s_cbranch_execz .LBB0_27
; %bb.26:
	v_add_f32_e32 v10, v32, v36
	v_add_f32_e32 v9, v31, v32
	v_fmac_f32_e32 v31, -0.5, v10
	v_sub_f32_e32 v10, v27, v35
	v_mov_b32_e32 v11, v31
	v_fmac_f32_e32 v11, 0xbf5db3d7, v10
	v_fmac_f32_e32 v31, 0x3f5db3d7, v10
	v_lshlrev_b32_e32 v10, 2, v29
	v_add_f32_e32 v9, v9, v36
	v_add3_u32 v10, 0, v37, v10
	ds_write2_b32 v10, v9, v11 offset1:12
	ds_write_b32 v10, v31 offset:96
.LBB0_27:
	s_or_b64 exec, exec, s[4:5]
	v_mov_b32_e32 v9, 57
	v_mul_lo_u16_sdwa v10, v0, v9 dst_sel:DWORD dst_unused:UNUSED_PAD src0_sel:BYTE_0 src1_sel:DWORD
	v_lshrrev_b16_e32 v27, 11, v10
	v_mul_lo_u16_e32 v10, 36, v27
	v_sub_u16_e32 v39, v0, v10
	v_mov_b32_e32 v10, 6
	v_mul_u32_u24_sdwa v11, v39, v10 dst_sel:DWORD dst_unused:UNUSED_PAD src0_sel:BYTE_0 src1_sel:DWORD
	v_lshlrev_b32_e32 v11, 3, v11
	v_mul_lo_u16_sdwa v9, v40, v9 dst_sel:DWORD dst_unused:UNUSED_PAD src0_sel:BYTE_0 src1_sel:DWORD
	s_waitcnt lgkmcnt(0)
	s_barrier
	global_load_dwordx4 v[29:32], v11, s[8:9] offset:272
	v_lshrrev_b16_e32 v57, 11, v9
	v_mul_lo_u16_e32 v9, 36, v57
	v_sub_u16_e32 v58, v40, v9
	v_mul_u32_u24_sdwa v9, v58, v10 dst_sel:DWORD dst_unused:UNUSED_PAD src0_sel:BYTE_0 src1_sel:DWORD
	v_lshlrev_b32_e32 v9, 3, v9
	global_load_dwordx4 v[33:36], v9, s[8:9] offset:272
	global_load_dwordx4 v[41:44], v11, s[8:9] offset:288
	;; [unrolled: 1-line block ×5, first 2 shown]
	ds_read2_b32 v[9:10], v8 offset0:124 offset1:250
	ds_read2_b32 v[37:38], v22 offset0:120 offset1:246
	s_mov_b32 s4, 0x3f5ff5aa
	s_mov_b32 s5, 0x3f3bfb3b
	;; [unrolled: 1-line block ×4, first 2 shown]
	s_movk_i32 s10, 0x3f0
	s_waitcnt vmcnt(5)
	v_mul_f32_e32 v59, v20, v30
	s_waitcnt lgkmcnt(1)
	v_mul_f32_e32 v11, v9, v30
	s_waitcnt lgkmcnt(0)
	v_mul_f32_e32 v30, v37, v32
	v_mul_f32_e32 v32, v18, v32
	v_fmac_f32_e32 v59, v9, v29
	s_waitcnt vmcnt(4)
	v_mul_f32_e32 v9, v10, v34
	v_fma_f32 v60, v20, v29, -v11
	v_fma_f32 v61, v18, v31, -v30
	v_fmac_f32_e32 v32, v37, v31
	v_mul_f32_e32 v31, v21, v34
	v_fma_f32 v34, v21, v33, -v9
	ds_read2_b32 v[20:21], v24 offset0:112 offset1:238
	v_mul_f32_e32 v9, v38, v36
	ds_read2_b32 v[29:30], v23 offset0:116 offset1:242
	v_fmac_f32_e32 v31, v10, v33
	v_mul_f32_e32 v33, v19, v36
	v_fma_f32 v36, v19, v35, -v9
	ds_read2_b32 v[18:19], v26 offset0:104 offset1:230
	ds_read2_b32 v[9:10], v25 offset0:108 offset1:234
	s_waitcnt vmcnt(3) lgkmcnt(3)
	v_mul_f32_e32 v37, v20, v44
	v_fmac_f32_e32 v33, v38, v35
	v_mul_f32_e32 v35, v16, v42
	v_mul_f32_e32 v38, v14, v44
	v_fma_f32 v14, v14, v43, -v37
	s_waitcnt vmcnt(2)
	v_mul_f32_e32 v37, v12, v48
	s_waitcnt lgkmcnt(2)
	v_mul_f32_e32 v11, v29, v42
	v_fmac_f32_e32 v35, v29, v41
	v_fmac_f32_e32 v38, v20, v43
	v_mul_f32_e32 v20, v6, v46
	s_waitcnt lgkmcnt(1)
	v_mul_f32_e32 v29, v18, v48
	v_fmac_f32_e32 v37, v18, v47
	s_waitcnt vmcnt(1)
	v_mul_f32_e32 v18, v30, v50
	v_fma_f32 v16, v16, v41, -v11
	s_waitcnt lgkmcnt(0)
	v_mul_f32_e32 v11, v9, v46
	v_fmac_f32_e32 v20, v9, v45
	v_fma_f32 v9, v12, v47, -v29
	v_mul_f32_e32 v29, v17, v50
	v_fma_f32 v17, v17, v49, -v18
	v_mul_f32_e32 v18, v21, v52
	v_fma_f32 v6, v6, v45, -v11
	ds_read2_b32 v[11:12], v1 offset1:126
	v_mul_f32_e32 v41, v15, v52
	s_waitcnt vmcnt(0)
	v_mul_f32_e32 v42, v7, v54
	v_fma_f32 v15, v15, v51, -v18
	v_mul_f32_e32 v18, v19, v56
	v_fmac_f32_e32 v29, v30, v49
	v_mul_f32_e32 v30, v10, v54
	v_mul_f32_e32 v43, v13, v56
	v_fmac_f32_e32 v41, v21, v51
	v_fmac_f32_e32 v42, v10, v53
	v_fma_f32 v10, v13, v55, -v18
	v_add_f32_e32 v13, v60, v9
	v_add_f32_e32 v21, v61, v6
	v_fma_f32 v7, v7, v53, -v30
	v_fmac_f32_e32 v43, v19, v55
	v_add_f32_e32 v18, v59, v37
	v_sub_f32_e32 v19, v59, v37
	v_add_f32_e32 v30, v32, v20
	v_sub_f32_e32 v20, v32, v20
	v_add_f32_e32 v32, v16, v14
	v_add_f32_e32 v37, v35, v38
	v_sub_f32_e32 v14, v14, v16
	v_sub_f32_e32 v16, v38, v35
	v_add_f32_e32 v35, v21, v13
	v_add_f32_e32 v38, v30, v18
	v_sub_f32_e32 v44, v21, v13
	v_sub_f32_e32 v13, v13, v32
	;; [unrolled: 1-line block ×3, first 2 shown]
	v_add_f32_e32 v32, v32, v35
	v_sub_f32_e32 v9, v60, v9
	v_sub_f32_e32 v6, v61, v6
	v_add_f32_e32 v35, v37, v38
	v_add_f32_e32 v4, v4, v32
	v_sub_f32_e32 v45, v30, v18
	v_sub_f32_e32 v18, v18, v37
	;; [unrolled: 1-line block ×3, first 2 shown]
	v_add_f32_e32 v46, v14, v6
	v_add_f32_e32 v47, v16, v20
	v_sub_f32_e32 v48, v14, v6
	v_sub_f32_e32 v49, v16, v20
	;; [unrolled: 1-line block ×4, first 2 shown]
	s_waitcnt lgkmcnt(0)
	v_add_f32_e32 v37, v11, v35
	v_mov_b32_e32 v50, v4
	v_sub_f32_e32 v14, v9, v14
	v_sub_f32_e32 v16, v19, v16
	v_add_f32_e32 v9, v46, v9
	v_add_f32_e32 v19, v47, v19
	v_mul_f32_e32 v11, 0x3f4a47b2, v13
	v_mul_f32_e32 v13, 0x3f4a47b2, v18
	;; [unrolled: 1-line block ×8, first 2 shown]
	v_fmac_f32_e32 v50, 0xbf955555, v32
	v_mov_b32_e32 v32, v37
	v_fmac_f32_e32 v32, 0xbf955555, v35
	v_fma_f32 v18, v44, s5, -v18
	v_fma_f32 v35, v45, s5, -v38
	;; [unrolled: 1-line block ×3, first 2 shown]
	v_fmac_f32_e32 v11, 0x3d64c772, v21
	v_fma_f32 v21, v45, s6, -v13
	v_fmac_f32_e32 v13, 0x3d64c772, v30
	v_fma_f32 v6, v6, s4, -v46
	;; [unrolled: 2-line block ×4, first 2 shown]
	v_fma_f32 v16, v16, s7, -v49
	v_add_f32_e32 v13, v13, v32
	v_add_f32_e32 v18, v18, v50
	;; [unrolled: 1-line block ×5, first 2 shown]
	v_fmac_f32_e32 v46, 0x3ee1c552, v9
	v_fmac_f32_e32 v6, 0x3ee1c552, v9
	;; [unrolled: 1-line block ×6, first 2 shown]
	v_sub_f32_e32 v19, v13, v46
	v_add_f32_e32 v32, v16, v35
	v_sub_f32_e32 v38, v21, v14
	v_sub_f32_e32 v44, v18, v20
	v_add_f32_e32 v45, v6, v30
	v_add_f32_e32 v18, v20, v18
	v_sub_f32_e32 v20, v30, v6
	v_sub_f32_e32 v6, v35, v16
	v_add_f32_e32 v21, v14, v21
	v_add_f32_e32 v30, v46, v13
	v_add_f32_e32 v13, v34, v10
	v_add_f32_e32 v14, v31, v43
	v_sub_f32_e32 v16, v31, v43
	v_add_f32_e32 v31, v36, v7
	v_sub_f32_e32 v10, v34, v10
	v_add_f32_e32 v34, v33, v42
	;; [unrolled: 2-line block ×3, first 2 shown]
	v_add_f32_e32 v36, v29, v41
	v_sub_f32_e32 v15, v15, v17
	v_sub_f32_e32 v17, v41, v29
	v_add_f32_e32 v29, v31, v13
	v_add_f32_e32 v41, v34, v14
	;; [unrolled: 1-line block ×3, first 2 shown]
	v_sub_f32_e32 v33, v33, v42
	v_sub_f32_e32 v42, v31, v13
	;; [unrolled: 1-line block ×4, first 2 shown]
	v_add_f32_e32 v35, v36, v41
	v_add_f32_e32 v5, v5, v29
	;; [unrolled: 1-line block ×3, first 2 shown]
	v_sub_f32_e32 v43, v34, v14
	v_sub_f32_e32 v14, v14, v36
	;; [unrolled: 1-line block ×3, first 2 shown]
	v_add_f32_e32 v46, v15, v7
	v_sub_f32_e32 v48, v15, v7
	v_sub_f32_e32 v7, v7, v10
	v_add_f32_e32 v36, v12, v35
	v_mov_b32_e32 v50, v5
	v_add_f32_e32 v9, v47, v11
	v_sub_f32_e32 v11, v11, v47
	v_add_f32_e32 v47, v17, v33
	v_sub_f32_e32 v49, v17, v33
	v_sub_f32_e32 v15, v10, v15
	;; [unrolled: 1-line block ×3, first 2 shown]
	v_add_f32_e32 v10, v46, v10
	v_mul_f32_e32 v12, 0x3f4a47b2, v13
	v_mul_f32_e32 v13, 0x3f4a47b2, v14
	;; [unrolled: 1-line block ×5, first 2 shown]
	v_fmac_f32_e32 v50, 0xbf955555, v29
	v_mov_b32_e32 v29, v36
	v_sub_f32_e32 v17, v16, v17
	v_add_f32_e32 v16, v47, v16
	v_mul_f32_e32 v14, 0x3d64c772, v31
	v_mul_f32_e32 v47, 0xbf08b237, v49
	;; [unrolled: 1-line block ×3, first 2 shown]
	v_fmac_f32_e32 v29, 0xbf955555, v35
	v_fma_f32 v35, v43, s5, -v41
	v_fma_f32 v41, v42, s6, -v12
	v_fmac_f32_e32 v12, 0x3d64c772, v31
	v_fma_f32 v31, v43, s6, -v13
	v_fmac_f32_e32 v13, 0x3d64c772, v34
	;; [unrolled: 2-line block ×3, first 2 shown]
	v_fma_f32 v15, v15, s7, -v48
	v_fma_f32 v14, v42, s5, -v14
	;; [unrolled: 1-line block ×3, first 2 shown]
	v_fmac_f32_e32 v47, 0x3eae86e6, v17
	v_fma_f32 v17, v17, s7, -v49
	v_add_f32_e32 v13, v13, v29
	v_add_f32_e32 v34, v35, v29
	;; [unrolled: 1-line block ×3, first 2 shown]
	v_fmac_f32_e32 v15, 0x3ee1c552, v10
	v_add_f32_e32 v14, v14, v50
	v_add_f32_e32 v35, v41, v50
	v_fmac_f32_e32 v46, 0x3ee1c552, v10
	v_fmac_f32_e32 v7, 0x3ee1c552, v10
	;; [unrolled: 1-line block ×4, first 2 shown]
	v_sub_f32_e32 v41, v29, v15
	v_add_f32_e32 v29, v15, v29
	v_mov_b32_e32 v15, 2
	v_fmac_f32_e32 v47, 0x3ee1c552, v16
	v_sub_f32_e32 v31, v13, v46
	v_add_f32_e32 v16, v17, v35
	v_sub_f32_e32 v42, v14, v33
	v_add_f32_e32 v43, v7, v34
	v_add_f32_e32 v14, v33, v14
	v_sub_f32_e32 v33, v34, v7
	v_sub_f32_e32 v7, v35, v17
	v_add_f32_e32 v34, v46, v13
	v_mul_u32_u24_e32 v13, 0x3f0, v27
	v_lshlrev_b32_sdwa v17, v15, v39 dst_sel:DWORD dst_unused:UNUSED_PAD src0_sel:DWORD src1_sel:BYTE_0
	v_add3_u32 v27, 0, v13, v17
	v_add_f32_e32 v12, v12, v50
	s_barrier
	ds_write2_b32 v27, v4, v9 offset1:36
	ds_write2_b32 v27, v32, v44 offset0:72 offset1:108
	ds_write2_b32 v27, v18, v6 offset0:144 offset1:180
	ds_write_b32 v27, v11 offset:864
	v_mul_u32_u24_e32 v4, 0x3f0, v57
	v_lshlrev_b32_sdwa v6, v15, v58 dst_sel:DWORD dst_unused:UNUSED_PAD src0_sel:DWORD src1_sel:BYTE_0
	v_add_f32_e32 v10, v47, v12
	v_sub_f32_e32 v12, v12, v47
	v_add3_u32 v18, 0, v4, v6
	ds_write2_b32 v18, v5, v10 offset1:36
	ds_write2_b32 v18, v16, v42 offset0:72 offset1:108
	ds_write2_b32 v18, v14, v7 offset0:144 offset1:180
	ds_write_b32 v18, v12 offset:864
	s_waitcnt lgkmcnt(0)
	s_barrier
	ds_read2_b32 v[4:5], v1 offset1:126
	ds_read2_b32 v[10:11], v8 offset0:124 offset1:250
	ds_read2_b32 v[6:7], v22 offset0:120 offset1:246
	;; [unrolled: 1-line block ×6, first 2 shown]
	s_waitcnt lgkmcnt(0)
	s_barrier
	ds_write2_b32 v27, v37, v19 offset1:36
	ds_write2_b32 v27, v38, v45 offset0:72 offset1:108
	ds_write2_b32 v27, v20, v21 offset0:144 offset1:180
	ds_write_b32 v27, v30 offset:864
	ds_write2_b32 v18, v36, v31 offset1:36
	ds_write2_b32 v18, v41, v43 offset0:72 offset1:108
	ds_write2_b32 v18, v33, v29 offset0:144 offset1:180
	ds_write_b32 v18, v34 offset:864
	s_waitcnt lgkmcnt(0)
	s_barrier
	s_and_saveexec_b64 s[12:13], s[0:1]
	s_cbranch_execz .LBB0_29
; %bb.28:
	v_mul_u32_u24_e32 v18, 6, v40
	v_lshlrev_b32_e32 v26, 3, v18
	global_load_dwordx4 v[18:21], v26, s[8:9] offset:2000
	global_load_dwordx4 v[22:25], v26, s[8:9] offset:2032
	;; [unrolled: 1-line block ×3, first 2 shown]
	v_add_u32_e32 v33, 0x200, v1
	v_add_u32_e32 v45, 0x600, v1
	;; [unrolled: 1-line block ×6, first 2 shown]
	ds_read2_b32 v[26:27], v1 offset1:126
	ds_read2_b32 v[37:38], v33 offset0:124 offset1:250
	ds_read2_b32 v[39:40], v34 offset0:104 offset1:230
	;; [unrolled: 1-line block ×6, first 2 shown]
	v_mul_u32_u24_e32 v1, 6, v0
	v_lshlrev_b32_e32 v1, 3, v1
	global_load_dwordx4 v[33:36], v1, s[8:9] offset:2000
	s_movk_i32 s0, 0x1000
	s_movk_i32 s1, 0x2000
	s_waitcnt vmcnt(3) lgkmcnt(5)
	v_mul_f32_e32 v49, v38, v19
	s_waitcnt vmcnt(2) lgkmcnt(4)
	v_mul_f32_e32 v50, v40, v25
	;; [unrolled: 2-line block ×3, first 2 shown]
	s_waitcnt lgkmcnt(2)
	v_mul_f32_e32 v52, v44, v30
	s_waitcnt lgkmcnt(1)
	v_mul_f32_e32 v53, v46, v21
	;; [unrolled: 2-line block ×3, first 2 shown]
	v_mul_f32_e32 v25, v13, v25
	v_mul_f32_e32 v19, v11, v19
	;; [unrolled: 1-line block ×6, first 2 shown]
	v_fma_f32 v15, v15, v31, -v51
	v_fma_f32 v17, v17, v29, -v52
	v_fmac_f32_e32 v30, v29, v44
	v_fmac_f32_e32 v32, v31, v42
	v_fma_f32 v11, v11, v18, -v49
	v_fma_f32 v13, v13, v24, -v50
	;; [unrolled: 1-line block ×4, first 2 shown]
	v_fmac_f32_e32 v25, v24, v40
	v_fmac_f32_e32 v19, v18, v38
	;; [unrolled: 1-line block ×4, first 2 shown]
	v_sub_f32_e32 v18, v11, v13
	v_sub_f32_e32 v20, v15, v17
	;; [unrolled: 1-line block ×3, first 2 shown]
	v_add_f32_e32 v24, v19, v25
	v_add_f32_e32 v29, v32, v30
	;; [unrolled: 1-line block ×6, first 2 shown]
	v_sub_f32_e32 v9, v19, v25
	v_sub_f32_e32 v15, v32, v30
	;; [unrolled: 1-line block ×5, first 2 shown]
	v_add_f32_e32 v20, v20, v22
	v_sub_f32_e32 v25, v29, v31
	v_add_f32_e32 v30, v24, v31
	v_add_f32_e32 v32, v11, v7
	v_sub_f32_e32 v22, v22, v18
	v_mul_f32_e32 v21, 0xbf08b237, v21
	v_add_f32_e32 v18, v18, v20
	v_mul_f32_e32 v20, 0x3d64c772, v25
	v_add_f32_e32 v25, v29, v30
	v_sub_f32_e32 v23, v24, v29
	v_sub_f32_e32 v38, v11, v13
	;; [unrolled: 1-line block ×4, first 2 shown]
	v_add_f32_e32 v13, v13, v32
	v_mul_f32_e32 v31, 0x3f5ff5aa, v22
	v_mov_b32_e32 v46, v21
	v_add_f32_e32 v30, v27, v25
	v_add_f32_e32 v29, v5, v13
	v_fma_f32 v5, v19, s7, -v31
	v_fmac_f32_e32 v46, 0x3eae86e6, v19
	v_mov_b32_e32 v19, v30
	v_sub_f32_e32 v42, v9, v15
	v_sub_f32_e32 v44, v15, v17
	v_fmac_f32_e32 v19, 0xbf955555, v25
	v_mov_b32_e32 v25, v29
	v_add_f32_e32 v15, v15, v17
	v_fmac_f32_e32 v25, 0xbf955555, v13
	v_mov_b32_e32 v13, v20
	v_mul_f32_e32 v27, 0xbf08b237, v44
	v_add_f32_e32 v15, v9, v15
	v_sub_f32_e32 v9, v17, v9
	v_fmac_f32_e32 v13, 0x3f4a47b2, v23
	v_mul_f32_e32 v23, 0x3f4a47b2, v23
	v_sub_f32_e32 v7, v7, v11
	v_mov_b32_e32 v11, v27
	v_mul_f32_e32 v17, 0x3f5ff5aa, v9
	v_fmac_f32_e32 v11, 0x3eae86e6, v42
	v_fma_f32 v23, v24, s6, -v23
	v_fma_f32 v42, v42, s7, -v17
	;; [unrolled: 1-line block ×3, first 2 shown]
	v_mul_f32_e32 v20, 0x3d64c772, v40
	v_add_f32_e32 v13, v13, v19
	v_add_f32_e32 v23, v23, v19
	;; [unrolled: 1-line block ×3, first 2 shown]
	v_mov_b32_e32 v19, v20
	v_fmac_f32_e32 v19, 0x3f4a47b2, v38
	v_mul_f32_e32 v24, 0x3f4a47b2, v38
	v_add_f32_e32 v38, v19, v25
	v_fma_f32 v19, v22, s4, -v21
	v_fmac_f32_e32 v46, 0x3ee1c552, v18
	v_fmac_f32_e32 v5, 0x3ee1c552, v18
	;; [unrolled: 1-line block ×3, first 2 shown]
	v_fma_f32 v18, v7, s6, -v24
	v_add_f32_e32 v21, v18, v25
	v_fmac_f32_e32 v42, 0x3ee1c552, v15
	v_add_f32_e32 v49, v5, v23
	v_sub_f32_e32 v48, v21, v42
	v_sub_f32_e32 v55, v23, v5
	v_add_f32_e32 v54, v42, v21
	global_load_dwordx4 v[21:24], v1, s[8:9] offset:2032
	v_sub_f32_e32 v51, v17, v19
	v_fma_f32 v7, v7, s5, -v20
	v_add_f32_e32 v53, v19, v17
	global_load_dwordx4 v[17:20], v1, s[8:9] offset:2016
	v_fmac_f32_e32 v11, 0x3ee1c552, v15
	v_fma_f32 v9, v9, s4, -v27
	s_waitcnt vmcnt(2)
	v_mul_f32_e32 v5, v37, v34
	v_sub_f32_e32 v31, v38, v11
	v_fmac_f32_e32 v9, 0x3ee1c552, v15
	v_add_f32_e32 v7, v7, v25
	v_add_f32_e32 v56, v11, v38
	v_fma_f32 v11, v10, v33, -v5
	v_add_f32_e32 v32, v46, v13
	v_add_f32_e32 v50, v9, v7
	v_sub_f32_e32 v52, v7, v9
	v_sub_f32_e32 v57, v13, v46
	v_mul_f32_e32 v7, v45, v36
	v_mul_f32_e32 v10, v10, v34
	v_fmac_f32_e32 v10, v33, v37
	s_waitcnt vmcnt(1)
	v_mul_f32_e32 v5, v39, v24
	v_fma_f32 v13, v12, v23, -v5
	v_mul_f32_e32 v12, v12, v24
	v_fmac_f32_e32 v12, v23, v39
	s_waitcnt vmcnt(0)
	v_mul_f32_e32 v5, v41, v20
	v_mul_f32_e32 v1, v43, v18
	;; [unrolled: 1-line block ×3, first 2 shown]
	v_fma_f32 v15, v14, v19, -v5
	v_mul_f32_e32 v14, v14, v20
	v_fma_f32 v18, v6, v35, -v7
	v_mul_f32_e32 v7, v47, v22
	v_fma_f32 v1, v16, v17, -v1
	v_fmac_f32_e32 v14, v19, v41
	v_fma_f32 v19, v8, v21, -v7
	v_sub_f32_e32 v16, v11, v13
	v_sub_f32_e32 v5, v15, v1
	v_sub_f32_e32 v20, v18, v19
	v_mul_f32_e32 v8, v8, v22
	v_mul_f32_e32 v6, v6, v36
	v_add_f32_e32 v1, v15, v1
	v_add_f32_e32 v18, v18, v19
	v_fmac_f32_e32 v9, v17, v43
	v_sub_f32_e32 v17, v16, v5
	v_sub_f32_e32 v7, v5, v20
	v_add_f32_e32 v5, v5, v20
	v_fmac_f32_e32 v8, v21, v47
	v_fmac_f32_e32 v6, v35, v45
	v_sub_f32_e32 v19, v1, v18
	v_add_f32_e32 v27, v16, v5
	v_add_f32_e32 v5, v14, v9
	;; [unrolled: 1-line block ×4, first 2 shown]
	v_mul_f32_e32 v19, 0x3d64c772, v19
	v_sub_f32_e32 v22, v5, v21
	v_sub_f32_e32 v13, v11, v1
	v_mov_b32_e32 v35, v19
	v_add_f32_e32 v23, v10, v12
	v_mul_f32_e32 v22, 0x3d64c772, v22
	v_mul_f32_e32 v15, 0x3f4a47b2, v13
	v_fmac_f32_e32 v35, 0x3f4a47b2, v13
	v_add_f32_e32 v13, v11, v18
	v_mul_f32_e32 v25, 0xbf08b237, v7
	v_sub_f32_e32 v7, v23, v5
	v_mov_b32_e32 v34, v22
	v_add_f32_e32 v1, v1, v13
	v_mul_f32_e32 v33, 0x3f4a47b2, v7
	v_fmac_f32_e32 v34, 0x3f4a47b2, v7
	v_add_f32_e32 v7, v23, v21
	v_add_f32_e32 v4, v4, v1
	v_sub_f32_e32 v9, v14, v9
	v_sub_f32_e32 v8, v6, v8
	v_add_f32_e32 v7, v5, v7
	v_mov_b32_e32 v13, v4
	v_sub_f32_e32 v6, v9, v8
	v_add_f32_e32 v5, v26, v7
	v_fmac_f32_e32 v13, 0xbf955555, v1
	v_sub_f32_e32 v10, v10, v12
	v_mul_f32_e32 v14, 0xbf08b237, v6
	v_add_f32_e32 v6, v9, v8
	v_sub_f32_e32 v18, v18, v11
	v_mov_b32_e32 v26, v5
	v_add_f32_e32 v1, v35, v13
	v_sub_f32_e32 v12, v10, v9
	v_mov_b32_e32 v35, v14
	v_add_f32_e32 v36, v10, v6
	v_sub_f32_e32 v16, v20, v16
	v_sub_f32_e32 v20, v21, v23
	v_fma_f32 v11, v18, s6, -v15
	v_sub_f32_e32 v10, v8, v10
	v_mov_b32_e32 v24, v25
	v_fmac_f32_e32 v26, 0xbf955555, v7
	v_fmac_f32_e32 v35, 0x3eae86e6, v12
	v_mul_f32_e32 v9, 0x3f5ff5aa, v16
	v_add_f32_e32 v23, v11, v13
	v_mul_f32_e32 v8, 0x3f5ff5aa, v10
	v_fma_f32 v11, v20, s5, -v22
	v_fma_f32 v15, v16, s4, -v25
	;; [unrolled: 1-line block ×4, first 2 shown]
	v_fmac_f32_e32 v24, 0x3eae86e6, v17
	v_fmac_f32_e32 v35, 0x3ee1c552, v36
	v_fma_f32 v17, v17, s7, -v9
	v_fma_f32 v9, v20, s6, -v33
	;; [unrolled: 1-line block ×3, first 2 shown]
	v_add_f32_e32 v12, v11, v26
	v_fmac_f32_e32 v15, 0x3ee1c552, v27
	v_fmac_f32_e32 v14, 0x3ee1c552, v36
	v_add_f32_e32 v16, v10, v13
	v_sub_f32_e32 v6, v1, v35
	v_sub_f32_e32 v11, v12, v15
	v_add_f32_e32 v10, v14, v16
	v_add_f32_e32 v13, v15, v12
	v_sub_f32_e32 v12, v16, v14
	v_add_f32_e32 v16, v35, v1
	v_mov_b32_e32 v1, 0
	v_mov_b32_e32 v18, s3
	v_add_co_u32_e32 v19, vcc, s2, v2
	s_mov_b32 s2, 0x20820821
	v_addc_co_u32_e32 v18, vcc, v18, v3, vcc
	v_lshlrev_b64 v[2:3], 3, v[0:1]
	v_mul_hi_u32 v0, v28, s2
	v_add_co_u32_e32 v2, vcc, v19, v2
	v_fmac_f32_e32 v24, 0x3ee1c552, v27
	v_add_f32_e32 v34, v34, v26
	v_fmac_f32_e32 v17, 0x3ee1c552, v27
	v_add_f32_e32 v21, v9, v26
	v_fmac_f32_e32 v33, 0x3ee1c552, v36
	v_addc_co_u32_e32 v3, vcc, v18, v3, vcc
	v_add_f32_e32 v9, v17, v21
	v_sub_f32_e32 v15, v21, v17
	v_add_f32_e32 v14, v33, v23
	v_sub_f32_e32 v17, v34, v24
	global_store_dwordx2 v[2:3], v[4:5], off
	global_store_dwordx2 v[2:3], v[16:17], off offset:2016
	global_store_dwordx2 v[2:3], v[14:15], off offset:4032
	v_add_co_u32_e32 v4, vcc, s0, v2
	v_lshrrev_b32_e32 v0, 3, v0
	v_addc_co_u32_e32 v5, vcc, 0, v3, vcc
	v_mul_u32_u24_e32 v0, 0x5e8, v0
	global_store_dwordx2 v[4:5], v[12:13], off offset:1952
	global_store_dwordx2 v[4:5], v[10:11], off offset:3968
	v_add_co_u32_e32 v4, vcc, s1, v2
	v_lshlrev_b64 v[0:1], 3, v[0:1]
	v_addc_co_u32_e32 v5, vcc, 0, v3, vcc
	v_add_co_u32_e32 v0, vcc, v2, v0
	v_addc_co_u32_e32 v1, vcc, v3, v1, vcc
	v_add_co_u32_e32 v2, vcc, s10, v0
	v_sub_f32_e32 v8, v23, v33
	v_addc_co_u32_e32 v3, vcc, 0, v1, vcc
	v_add_f32_e32 v7, v24, v34
	global_store_dwordx2 v[4:5], v[8:9], off offset:1888
	global_store_dwordx2 v[4:5], v[6:7], off offset:3904
	;; [unrolled: 1-line block ×5, first 2 shown]
	v_add_co_u32_e32 v2, vcc, s0, v0
	v_addc_co_u32_e32 v3, vcc, 0, v1, vcc
	global_store_dwordx2 v[2:3], v[52:53], off offset:2960
	v_add_co_u32_e32 v2, vcc, 0x2000, v0
	v_addc_co_u32_e32 v3, vcc, 0, v1, vcc
	v_add_co_u32_e32 v0, vcc, 0x3000, v0
	v_addc_co_u32_e32 v1, vcc, 0, v1, vcc
	global_store_dwordx2 v[2:3], v[50:51], off offset:880
	global_store_dwordx2 v[2:3], v[48:49], off offset:2896
	;; [unrolled: 1-line block ×3, first 2 shown]
.LBB0_29:
	s_endpgm
	.section	.rodata,"a",@progbits
	.p2align	6, 0x0
	.amdhsa_kernel fft_rtc_fwd_len1764_factors_2_2_3_3_7_7_wgs_126_tpt_126_halfLds_sp_ip_CI_unitstride_sbrr_dirReg
		.amdhsa_group_segment_fixed_size 0
		.amdhsa_private_segment_fixed_size 0
		.amdhsa_kernarg_size 88
		.amdhsa_user_sgpr_count 6
		.amdhsa_user_sgpr_private_segment_buffer 1
		.amdhsa_user_sgpr_dispatch_ptr 0
		.amdhsa_user_sgpr_queue_ptr 0
		.amdhsa_user_sgpr_kernarg_segment_ptr 1
		.amdhsa_user_sgpr_dispatch_id 0
		.amdhsa_user_sgpr_flat_scratch_init 0
		.amdhsa_user_sgpr_private_segment_size 0
		.amdhsa_uses_dynamic_stack 0
		.amdhsa_system_sgpr_private_segment_wavefront_offset 0
		.amdhsa_system_sgpr_workgroup_id_x 1
		.amdhsa_system_sgpr_workgroup_id_y 0
		.amdhsa_system_sgpr_workgroup_id_z 0
		.amdhsa_system_sgpr_workgroup_info 0
		.amdhsa_system_vgpr_workitem_id 0
		.amdhsa_next_free_vgpr 62
		.amdhsa_next_free_sgpr 22
		.amdhsa_reserve_vcc 1
		.amdhsa_reserve_flat_scratch 0
		.amdhsa_float_round_mode_32 0
		.amdhsa_float_round_mode_16_64 0
		.amdhsa_float_denorm_mode_32 3
		.amdhsa_float_denorm_mode_16_64 3
		.amdhsa_dx10_clamp 1
		.amdhsa_ieee_mode 1
		.amdhsa_fp16_overflow 0
		.amdhsa_exception_fp_ieee_invalid_op 0
		.amdhsa_exception_fp_denorm_src 0
		.amdhsa_exception_fp_ieee_div_zero 0
		.amdhsa_exception_fp_ieee_overflow 0
		.amdhsa_exception_fp_ieee_underflow 0
		.amdhsa_exception_fp_ieee_inexact 0
		.amdhsa_exception_int_div_zero 0
	.end_amdhsa_kernel
	.text
.Lfunc_end0:
	.size	fft_rtc_fwd_len1764_factors_2_2_3_3_7_7_wgs_126_tpt_126_halfLds_sp_ip_CI_unitstride_sbrr_dirReg, .Lfunc_end0-fft_rtc_fwd_len1764_factors_2_2_3_3_7_7_wgs_126_tpt_126_halfLds_sp_ip_CI_unitstride_sbrr_dirReg
                                        ; -- End function
	.section	.AMDGPU.csdata,"",@progbits
; Kernel info:
; codeLenInByte = 8620
; NumSgprs: 26
; NumVgprs: 62
; ScratchSize: 0
; MemoryBound: 0
; FloatMode: 240
; IeeeMode: 1
; LDSByteSize: 0 bytes/workgroup (compile time only)
; SGPRBlocks: 3
; VGPRBlocks: 15
; NumSGPRsForWavesPerEU: 26
; NumVGPRsForWavesPerEU: 62
; Occupancy: 4
; WaveLimiterHint : 1
; COMPUTE_PGM_RSRC2:SCRATCH_EN: 0
; COMPUTE_PGM_RSRC2:USER_SGPR: 6
; COMPUTE_PGM_RSRC2:TRAP_HANDLER: 0
; COMPUTE_PGM_RSRC2:TGID_X_EN: 1
; COMPUTE_PGM_RSRC2:TGID_Y_EN: 0
; COMPUTE_PGM_RSRC2:TGID_Z_EN: 0
; COMPUTE_PGM_RSRC2:TIDIG_COMP_CNT: 0
	.type	__hip_cuid_c82e1ce6984f40d9,@object ; @__hip_cuid_c82e1ce6984f40d9
	.section	.bss,"aw",@nobits
	.globl	__hip_cuid_c82e1ce6984f40d9
__hip_cuid_c82e1ce6984f40d9:
	.byte	0                               ; 0x0
	.size	__hip_cuid_c82e1ce6984f40d9, 1

	.ident	"AMD clang version 19.0.0git (https://github.com/RadeonOpenCompute/llvm-project roc-6.4.0 25133 c7fe45cf4b819c5991fe208aaa96edf142730f1d)"
	.section	".note.GNU-stack","",@progbits
	.addrsig
	.addrsig_sym __hip_cuid_c82e1ce6984f40d9
	.amdgpu_metadata
---
amdhsa.kernels:
  - .args:
      - .actual_access:  read_only
        .address_space:  global
        .offset:         0
        .size:           8
        .value_kind:     global_buffer
      - .offset:         8
        .size:           8
        .value_kind:     by_value
      - .actual_access:  read_only
        .address_space:  global
        .offset:         16
        .size:           8
        .value_kind:     global_buffer
      - .actual_access:  read_only
        .address_space:  global
        .offset:         24
        .size:           8
        .value_kind:     global_buffer
      - .offset:         32
        .size:           8
        .value_kind:     by_value
      - .actual_access:  read_only
        .address_space:  global
        .offset:         40
        .size:           8
        .value_kind:     global_buffer
      - .actual_access:  read_only
        .address_space:  global
        .offset:         48
        .size:           8
        .value_kind:     global_buffer
      - .offset:         56
        .size:           4
        .value_kind:     by_value
      - .actual_access:  read_only
        .address_space:  global
        .offset:         64
        .size:           8
        .value_kind:     global_buffer
      - .actual_access:  read_only
        .address_space:  global
        .offset:         72
        .size:           8
        .value_kind:     global_buffer
      - .address_space:  global
        .offset:         80
        .size:           8
        .value_kind:     global_buffer
    .group_segment_fixed_size: 0
    .kernarg_segment_align: 8
    .kernarg_segment_size: 88
    .language:       OpenCL C
    .language_version:
      - 2
      - 0
    .max_flat_workgroup_size: 126
    .name:           fft_rtc_fwd_len1764_factors_2_2_3_3_7_7_wgs_126_tpt_126_halfLds_sp_ip_CI_unitstride_sbrr_dirReg
    .private_segment_fixed_size: 0
    .sgpr_count:     26
    .sgpr_spill_count: 0
    .symbol:         fft_rtc_fwd_len1764_factors_2_2_3_3_7_7_wgs_126_tpt_126_halfLds_sp_ip_CI_unitstride_sbrr_dirReg.kd
    .uniform_work_group_size: 1
    .uses_dynamic_stack: false
    .vgpr_count:     62
    .vgpr_spill_count: 0
    .wavefront_size: 64
amdhsa.target:   amdgcn-amd-amdhsa--gfx906
amdhsa.version:
  - 1
  - 2
...

	.end_amdgpu_metadata
